;; amdgpu-corpus repo=ROCm/rocFFT kind=compiled arch=gfx1201 opt=O3
	.text
	.amdgcn_target "amdgcn-amd-amdhsa--gfx1201"
	.amdhsa_code_object_version 6
	.protected	bluestein_single_back_len44_dim1_sp_op_CI_CI ; -- Begin function bluestein_single_back_len44_dim1_sp_op_CI_CI
	.globl	bluestein_single_back_len44_dim1_sp_op_CI_CI
	.p2align	8
	.type	bluestein_single_back_len44_dim1_sp_op_CI_CI,@function
bluestein_single_back_len44_dim1_sp_op_CI_CI: ; @bluestein_single_back_len44_dim1_sp_op_CI_CI
; %bb.0:
	s_load_b128 s[16:19], s[0:1], 0x28
	v_lshrrev_b32_e32 v1, 2, v0
	v_mov_b32_e32 v33, 0
	s_mov_b32 s2, exec_lo
	s_delay_alu instid0(VALU_DEP_2) | instskip(SKIP_1) | instid1(VALU_DEP_1)
	v_lshl_or_b32 v32, ttmp9, 4, v1
	s_wait_kmcnt 0x0
	v_cmpx_gt_u64_e64 s[16:17], v[32:33]
	s_cbranch_execz .LBB0_10
; %bb.1:
	s_clause 0x1
	s_load_b128 s[4:7], s[0:1], 0x18
	s_load_b128 s[8:11], s[0:1], 0x0
	v_mul_u32_u24_e32 v72, 44, v1
	s_wait_kmcnt 0x0
	s_load_b128 s[12:15], s[4:5], 0x0
	s_wait_kmcnt 0x0
	v_mad_co_u64_u32 v[2:3], null, s14, v32, 0
	v_and_b32_e32 v67, 3, v0
	s_lshl_b64 s[2:3], s[12:13], 5
	s_delay_alu instid0(VALU_DEP_2) | instskip(NEXT) | instid1(VALU_DEP_2)
	v_mov_b32_e32 v0, v3
	v_mad_co_u64_u32 v[4:5], null, s12, v67, 0
	v_lshlrev_b32_e32 v70, 3, v67
	s_clause 0x3
	global_load_b64 v[33:34], v70, s[8:9]
	global_load_b64 v[35:36], v70, s[8:9] offset:32
	global_load_b64 v[37:38], v70, s[8:9] offset:64
	;; [unrolled: 1-line block ×3, first 2 shown]
	v_mov_b32_e32 v3, v5
	v_mad_co_u64_u32 v[5:6], null, s15, v32, v[0:1]
	s_clause 0x4
	global_load_b64 v[41:42], v70, s[8:9] offset:128
	global_load_b64 v[43:44], v70, s[8:9] offset:160
	;; [unrolled: 1-line block ×5, first 2 shown]
	v_mad_co_u64_u32 v[6:7], null, s13, v67, v[3:4]
	v_or_b32_e32 v1, v72, v67
	v_lshl_or_b32 v68, v72, 3, v70
	v_mov_b32_e32 v3, v5
	s_delay_alu instid0(VALU_DEP_4) | instskip(NEXT) | instid1(VALU_DEP_2)
	v_mov_b32_e32 v5, v6
	v_lshlrev_b64_e32 v[2:3], 3, v[2:3]
	s_delay_alu instid0(VALU_DEP_2) | instskip(NEXT) | instid1(VALU_DEP_2)
	v_lshlrev_b64_e32 v[4:5], 3, v[4:5]
	v_add_co_u32 v0, vcc_lo, s18, v2
	s_delay_alu instid0(VALU_DEP_3) | instskip(NEXT) | instid1(VALU_DEP_2)
	v_add_co_ci_u32_e32 v3, vcc_lo, s19, v3, vcc_lo
	v_add_co_u32 v2, vcc_lo, v0, v4
	s_wait_alu 0xfffd
	s_delay_alu instid0(VALU_DEP_2) | instskip(NEXT) | instid1(VALU_DEP_2)
	v_add_co_ci_u32_e32 v3, vcc_lo, v3, v5, vcc_lo
	v_add_co_u32 v4, vcc_lo, v2, s2
	s_wait_alu 0xfffd
	s_delay_alu instid0(VALU_DEP_2)
	v_add_co_ci_u32_e32 v5, vcc_lo, s3, v3, vcc_lo
	global_load_b64 v[2:3], v[2:3], off
	v_add_co_u32 v6, vcc_lo, v4, s2
	s_wait_alu 0xfffd
	v_add_co_ci_u32_e32 v7, vcc_lo, s3, v5, vcc_lo
	global_load_b64 v[4:5], v[4:5], off
	v_add_co_u32 v8, vcc_lo, v6, s2
	s_wait_alu 0xfffd
	v_add_co_ci_u32_e32 v9, vcc_lo, s3, v7, vcc_lo
	v_lshlrev_b32_e32 v69, 3, v1
	s_delay_alu instid0(VALU_DEP_3) | instskip(SKIP_1) | instid1(VALU_DEP_3)
	v_add_co_u32 v10, vcc_lo, v8, s2
	s_wait_alu 0xfffd
	v_add_co_ci_u32_e32 v11, vcc_lo, s3, v9, vcc_lo
	s_delay_alu instid0(VALU_DEP_2) | instskip(SKIP_1) | instid1(VALU_DEP_2)
	v_add_co_u32 v12, vcc_lo, v10, s2
	s_wait_alu 0xfffd
	v_add_co_ci_u32_e32 v13, vcc_lo, s3, v11, vcc_lo
	s_clause 0x2
	global_load_b64 v[6:7], v[6:7], off
	global_load_b64 v[8:9], v[8:9], off
	;; [unrolled: 1-line block ×3, first 2 shown]
	v_add_co_u32 v14, vcc_lo, v12, s2
	s_wait_alu 0xfffd
	v_add_co_ci_u32_e32 v15, vcc_lo, s3, v13, vcc_lo
	global_load_b64 v[12:13], v[12:13], off
	v_add_co_u32 v16, vcc_lo, v14, s2
	s_wait_alu 0xfffd
	v_add_co_ci_u32_e32 v17, vcc_lo, s3, v15, vcc_lo
	global_load_b64 v[14:15], v[14:15], off
	;; [unrolled: 4-line block ×5, first 2 shown]
	s_clause 0x1
	global_load_b64 v[51:52], v70, s[8:9] offset:288
	global_load_b64 v[53:54], v70, s[8:9] offset:320
	global_load_b64 v[22:23], v[22:23], off
	s_load_b128 s[4:7], s[6:7], 0x0
	s_load_b64 s[2:3], s[0:1], 0x38
	v_cmp_ne_u32_e32 vcc_lo, 3, v67
	s_wait_loadcnt 0xc
	v_mul_f32_e32 v0, v3, v34
	v_mul_f32_e32 v24, v2, v34
	s_delay_alu instid0(VALU_DEP_2) | instskip(NEXT) | instid1(VALU_DEP_2)
	v_fmac_f32_e32 v0, v2, v33
	v_fma_f32 v1, v3, v33, -v24
	s_wait_loadcnt 0xb
	v_mul_f32_e32 v3, v4, v36
	v_mul_f32_e32 v2, v5, v36
	ds_store_b64 v69, v[0:1]
	v_fma_f32 v3, v5, v35, -v3
	v_fmac_f32_e32 v2, v4, v35
	s_wait_loadcnt 0x9
	v_dual_mul_f32 v0, v7, v38 :: v_dual_mul_f32 v5, v8, v40
	v_dual_mul_f32 v1, v6, v38 :: v_dual_mul_f32 v4, v9, v40
	s_delay_alu instid0(VALU_DEP_2) | instskip(SKIP_2) | instid1(VALU_DEP_3)
	v_fmac_f32_e32 v0, v6, v37
	s_wait_loadcnt 0x8
	v_mul_f32_e32 v6, v11, v42
	v_fma_f32 v1, v7, v37, -v1
	v_dual_mul_f32 v7, v10, v42 :: v_dual_fmac_f32 v4, v8, v39
	s_wait_loadcnt 0x7
	v_mul_f32_e32 v8, v13, v44
	v_fma_f32 v5, v9, v39, -v5
	v_dual_mul_f32 v9, v12, v44 :: v_dual_fmac_f32 v6, v10, v41
	s_wait_loadcnt 0x6
	v_mul_f32_e32 v10, v15, v46
	v_fma_f32 v7, v11, v41, -v7
	v_mul_f32_e32 v11, v14, v46
	v_fma_f32 v9, v13, v43, -v9
	s_wait_loadcnt 0x5
	v_mul_f32_e32 v13, v16, v50
	v_fmac_f32_e32 v8, v12, v43
	v_mul_f32_e32 v12, v17, v50
	v_fmac_f32_e32 v10, v14, v45
	s_wait_loadcnt 0x4
	v_mul_f32_e32 v14, v19, v48
	v_fma_f32 v11, v15, v45, -v11
	v_dual_mul_f32 v15, v18, v48 :: v_dual_fmac_f32 v12, v16, v49
	v_fma_f32 v13, v17, v49, -v13
	s_delay_alu instid0(VALU_DEP_4)
	v_fmac_f32_e32 v14, v18, v47
	s_wait_loadcnt 0x2
	v_mul_f32_e32 v16, v21, v52
	s_wait_loadcnt 0x0
	v_dual_mul_f32 v17, v20, v52 :: v_dual_mul_f32 v18, v23, v54
	v_mul_f32_e32 v24, v22, v54
	v_fma_f32 v15, v19, v47, -v15
	v_fmac_f32_e32 v16, v20, v51
	s_delay_alu instid0(VALU_DEP_4)
	v_fma_f32 v17, v21, v51, -v17
	v_fmac_f32_e32 v18, v22, v53
	v_fma_f32 v19, v23, v53, -v24
	ds_store_2addr_b64 v68, v[2:3], v[0:1] offset0:4 offset1:8
	ds_store_2addr_b64 v68, v[4:5], v[6:7] offset0:12 offset1:16
	;; [unrolled: 1-line block ×5, first 2 shown]
	global_wb scope:SCOPE_SE
	s_wait_dscnt 0x0
	s_wait_kmcnt 0x0
	s_barrier_signal -1
	s_barrier_wait -1
	global_inv scope:SCOPE_SE
	ds_load_b64 v[8:9], v69
	ds_load_2addr_b64 v[4:7], v68 offset0:4 offset1:8
	ds_load_2addr_b64 v[0:3], v68 offset0:36 offset1:40
	v_mul_u32_u24_e32 v18, 11, v67
	ds_load_2addr_b64 v[10:13], v68 offset0:12 offset1:16
	ds_load_2addr_b64 v[14:17], v68 offset0:28 offset1:32
	v_add_lshl_u32 v71, v72, v18, 3
	ds_load_2addr_b64 v[18:21], v68 offset0:20 offset1:24
	global_wb scope:SCOPE_SE
	s_wait_dscnt 0x0
	s_barrier_signal -1
	s_barrier_wait -1
	global_inv scope:SCOPE_SE
	v_dual_add_f32 v23, v9, v5 :: v_dual_add_f32 v24, v2, v4
	v_add_f32_e32 v25, v3, v5
	v_dual_sub_f32 v5, v5, v3 :: v_dual_add_f32 v22, v8, v4
	v_dual_sub_f32 v4, v4, v2 :: v_dual_add_f32 v27, v1, v7
	v_sub_f32_e32 v29, v7, v1
	s_delay_alu instid0(VALU_DEP_3)
	v_mul_f32_e32 v73, 0xbf7d64f0, v5
	v_sub_f32_e32 v55, v10, v16
	v_add_f32_e32 v7, v23, v7
	v_dual_mul_f32 v65, 0xbf68dda4, v5 :: v_dual_mul_f32 v66, 0xbf68dda4, v4
	v_dual_add_f32 v26, v0, v6 :: v_dual_mul_f32 v75, 0xbf4178ce, v5
	v_sub_f32_e32 v28, v6, v0
	v_sub_f32_e32 v56, v11, v17
	v_dual_sub_f32 v60, v13, v15 :: v_dual_mul_f32 v79, 0xbf4178ce, v29
	v_add_f32_e32 v61, v20, v18
	v_dual_add_f32 v6, v22, v6 :: v_dual_mul_f32 v83, 0x3f7d64f0, v29
	v_dual_mul_f32 v23, 0xbf0a6770, v4 :: v_dual_mul_f32 v92, 0xbf0a6770, v55
	s_delay_alu instid0(VALU_DEP_4)
	v_mul_f32_e32 v95, 0xbf0a6770, v60
	v_add_f32_e32 v7, v7, v11
	v_fma_f32 v109, 0x3ed4b147, v24, -v65
	v_dual_fmamk_f32 v110, v25, 0x3ed4b147, v66 :: v_dual_fmac_f32 v65, 0x3ed4b147, v24
	v_mul_f32_e32 v86, 0xbf7d64f0, v55
	v_mul_f32_e32 v88, 0x3e903f40, v55
	v_fma_f32 v66, 0x3ed4b147, v25, -v66
	v_mul_f32_e32 v90, 0x3f68dda4, v55
	v_mul_f32_e32 v55, 0xbf4178ce, v55
	v_dual_mul_f32 v22, 0xbf0a6770, v5 :: v_dual_mul_f32 v91, 0xbf0a6770, v56
	v_dual_add_f32 v30, v16, v10 :: v_dual_mul_f32 v77, 0xbf68dda4, v29
	v_add_f32_e32 v31, v17, v11
	v_sub_f32_e32 v59, v12, v14
	v_dual_sub_f32 v63, v18, v20 :: v_dual_sub_f32 v64, v19, v21
	v_mul_f32_e32 v87, 0x3e903f40, v56
	v_mul_f32_e32 v74, 0xbf7d64f0, v4
	s_delay_alu instid0(VALU_DEP_4)
	v_dual_mul_f32 v76, 0xbf4178ce, v4 :: v_dual_mul_f32 v97, 0xbf4178ce, v59
	v_dual_mul_f32 v5, 0xbe903f40, v5 :: v_dual_mul_f32 v4, 0xbe903f40, v4
	v_mul_f32_e32 v105, 0xbe903f40, v63
	v_dual_mul_f32 v78, 0xbf68dda4, v28 :: v_dual_add_f32 v7, v7, v13
	v_dual_mul_f32 v93, 0xbf4178ce, v60 :: v_dual_add_f32 v6, v6, v10
	v_fma_f32 v10, 0x3f575c64, v24, -v22
	v_dual_fmamk_f32 v11, v25, 0x3f575c64, v23 :: v_dual_fmac_f32 v22, 0x3f575c64, v24
	v_dual_add_f32 v57, v14, v12 :: v_dual_add_f32 v58, v15, v13
	v_dual_mul_f32 v85, 0xbf7d64f0, v56 :: v_dual_add_f32 v62, v21, v19
	v_mul_f32_e32 v81, 0x3e903f40, v29
	v_dual_mul_f32 v80, 0xbf4178ce, v28 :: v_dual_mul_f32 v107, 0xbf4178ce, v63
	v_dual_mul_f32 v82, 0x3e903f40, v28 :: v_dual_add_f32 v11, v9, v11
	v_mul_f32_e32 v29, 0x3f0a6770, v29
	v_dual_mul_f32 v89, 0x3f68dda4, v56 :: v_dual_mul_f32 v108, 0x3f68dda4, v63
	v_dual_mul_f32 v99, 0xbf0a6770, v59 :: v_dual_add_f32 v6, v6, v12
	v_dual_mul_f32 v100, 0xbe903f40, v59 :: v_dual_mul_f32 v101, 0xbe903f40, v64
	v_dual_mul_f32 v103, 0xbf4178ce, v64 :: v_dual_add_f32 v10, v8, v10
	v_dual_mul_f32 v104, 0x3f68dda4, v64 :: v_dual_add_f32 v7, v7, v19
	v_fma_f32 v23, 0x3f575c64, v25, -v23
	v_mul_f32_e32 v84, 0x3f7d64f0, v28
	v_mul_f32_e32 v28, 0x3f0a6770, v28
	v_fma_f32 v111, 0xbe11bafb, v24, -v73
	v_fmac_f32_e32 v73, 0xbe11bafb, v24
	v_dual_add_f32 v13, v9, v23 :: v_dual_mul_f32 v56, 0xbf4178ce, v56
	v_fma_f32 v113, 0xbf27a4f4, v24, -v75
	v_dual_fmamk_f32 v114, v25, 0xbf27a4f4, v76 :: v_dual_fmac_f32 v75, 0xbf27a4f4, v24
	v_mul_f32_e32 v94, 0x3f7d64f0, v60
	v_mul_f32_e32 v96, 0xbe903f40, v60
	;; [unrolled: 1-line block ×3, first 2 shown]
	v_fma_f32 v76, 0xbf27a4f4, v25, -v76
	v_fma_f32 v115, 0xbf75a155, v24, -v5
	v_dual_fmamk_f32 v116, v25, 0xbf75a155, v4 :: v_dual_fmac_f32 v5, 0xbf75a155, v24
	v_mul_f32_e32 v102, 0x3f0a6770, v64
	v_mul_f32_e32 v106, 0x3f0a6770, v63
	;; [unrolled: 1-line block ×3, first 2 shown]
	v_fmamk_f32 v112, v25, 0xbe11bafb, v74
	v_mul_f32_e32 v98, 0x3f7d64f0, v59
	v_mul_f32_e32 v59, 0x3f68dda4, v59
	v_fma_f32 v74, 0xbe11bafb, v25, -v74
	v_fma_f32 v4, 0xbf75a155, v25, -v4
	v_dual_fmamk_f32 v25, v27, 0x3ed4b147, v78 :: v_dual_add_f32 v12, v8, v22
	v_mul_f32_e32 v64, 0xbf7d64f0, v64
	v_fma_f32 v24, 0x3ed4b147, v26, -v77
	v_dual_fmac_f32 v77, 0x3ed4b147, v26 :: v_dual_fmamk_f32 v128, v31, 0x3ed4b147, v90
	v_fma_f32 v78, 0x3ed4b147, v27, -v78
	v_fma_f32 v117, 0xbf27a4f4, v26, -v79
	v_dual_fmamk_f32 v118, v27, 0xbf27a4f4, v80 :: v_dual_fmac_f32 v79, 0xbf27a4f4, v26
	v_fma_f32 v80, 0xbf27a4f4, v27, -v80
	v_fma_f32 v119, 0xbf75a155, v26, -v81
	v_dual_fmamk_f32 v120, v27, 0xbf75a155, v82 :: v_dual_fmac_f32 v81, 0xbf75a155, v26
	;; [unrolled: 3-line block ×4, first 2 shown]
	v_fma_f32 v26, 0x3f575c64, v27, -v28
	v_fma_f32 v27, 0xbe11bafb, v30, -v85
	v_fmac_f32_e32 v85, 0xbe11bafb, v30
	v_fma_f32 v125, 0xbf75a155, v30, -v87
	v_dual_fmamk_f32 v126, v31, 0xbf75a155, v88 :: v_dual_fmac_f32 v87, 0xbf75a155, v30
	v_fma_f32 v88, 0xbf75a155, v31, -v88
	v_fma_f32 v127, 0x3ed4b147, v30, -v89
	v_fmac_f32_e32 v89, 0x3ed4b147, v30
	v_fma_f32 v90, 0x3ed4b147, v31, -v90
	v_fma_f32 v129, 0x3f575c64, v30, -v91
	v_dual_fmamk_f32 v130, v31, 0x3f575c64, v92 :: v_dual_fmac_f32 v91, 0x3f575c64, v30
	v_fma_f32 v92, 0x3f575c64, v31, -v92
	v_fmamk_f32 v132, v31, 0xbf27a4f4, v55
	v_fma_f32 v133, 0x3f575c64, v57, -v95
	v_fma_f32 v135, 0x3ed4b147, v57, -v60
	v_fmac_f32_e32 v60, 0x3ed4b147, v57
	v_fmamk_f32 v138, v58, 0xbf75a155, v100
	v_fma_f32 v100, 0xbf75a155, v58, -v100
	v_fmamk_f32 v139, v58, 0x3ed4b147, v59
	v_fma_f32 v141, 0xbf27a4f4, v61, -v103
	v_fmac_f32_e32 v103, 0xbf27a4f4, v61
	v_fma_f32 v142, 0x3ed4b147, v61, -v104
	v_fmac_f32_e32 v104, 0x3ed4b147, v61
	v_fma_f32 v143, 0xbe11bafb, v61, -v64
	v_dual_fmamk_f32 v145, v62, 0xbf27a4f4, v107 :: v_dual_add_f32 v74, v9, v74
	v_fma_f32 v107, 0xbf27a4f4, v62, -v107
	v_dual_fmamk_f32 v147, v62, 0xbe11bafb, v63 :: v_dual_add_f32 v22, v8, v109
	v_dual_add_f32 v23, v9, v110 :: v_dual_fmamk_f32 v28, v31, 0xbe11bafb, v86
	v_fma_f32 v86, 0xbe11bafb, v31, -v86
	v_dual_fmac_f32 v64, 0xbe11bafb, v61 :: v_dual_add_f32 v109, v9, v112
	v_fmamk_f32 v136, v58, 0xbe11bafb, v98
	v_fma_f32 v98, 0xbe11bafb, v58, -v98
	v_fmamk_f32 v146, v62, 0x3ed4b147, v108
	v_fma_f32 v108, 0x3ed4b147, v62, -v108
	v_add_f32_e32 v73, v8, v73
	v_fma_f32 v131, 0xbf27a4f4, v30, -v56
	v_fmac_f32_e32 v56, 0xbf27a4f4, v30
	v_fma_f32 v30, 0xbf27a4f4, v31, -v55
	v_fma_f32 v31, 0xbf27a4f4, v57, -v93
	v_fmac_f32_e32 v93, 0xbf27a4f4, v57
	v_fma_f32 v55, 0xbe11bafb, v57, -v94
	v_fmac_f32_e32 v94, 0xbe11bafb, v57
	v_add_f32_e32 v110, v8, v113
	v_add_f32_e32 v75, v8, v75
	v_fma_f32 v134, 0xbf75a155, v57, -v96
	v_dual_fmac_f32 v96, 0xbf75a155, v57 :: v_dual_add_f32 v113, v9, v116
	v_dual_fmac_f32 v95, 0x3f575c64, v57 :: v_dual_fmamk_f32 v144, v62, 0x3f575c64, v106
	v_fmamk_f32 v57, v58, 0xbf27a4f4, v97
	v_fma_f32 v97, 0xbf27a4f4, v58, -v97
	v_fma_f32 v106, 0x3f575c64, v62, -v106
	v_add_f32_e32 v5, v8, v5
	v_fmamk_f32 v137, v58, 0x3f575c64, v99
	v_fma_f32 v99, 0x3f575c64, v58, -v99
	v_fma_f32 v58, 0x3ed4b147, v58, -v59
	;; [unrolled: 1-line block ×3, first 2 shown]
	v_fmac_f32_e32 v101, 0xbf75a155, v61
	v_fma_f32 v140, 0x3f575c64, v61, -v102
	v_fmac_f32_e32 v102, 0x3f575c64, v61
	v_fmamk_f32 v61, v62, 0xbf75a155, v105
	v_fma_f32 v105, 0xbf75a155, v62, -v105
	v_fma_f32 v62, 0xbe11bafb, v62, -v63
	v_add_f32_e32 v63, v8, v65
	v_dual_add_f32 v65, v9, v66 :: v_dual_add_f32 v66, v8, v111
	v_add_f32_e32 v111, v9, v114
	v_add_f32_e32 v76, v9, v76
	s_delay_alu instid0(VALU_DEP_3) | instskip(SKIP_1) | instid1(VALU_DEP_4)
	v_dual_add_f32 v4, v9, v4 :: v_dual_add_f32 v19, v80, v65
	v_add_f32_e32 v9, v25, v11
	v_add_f32_e32 v65, v122, v111
	;; [unrolled: 1-line block ×3, first 2 shown]
	v_dual_add_f32 v25, v82, v74 :: v_dual_add_f32 v112, v8, v115
	v_dual_add_f32 v8, v24, v10 :: v_dual_add_f32 v5, v29, v5
	;; [unrolled: 1-line block ×4, first 2 shown]
	v_add_f32_e32 v9, v28, v9
	v_add_f32_e32 v13, v118, v23
	;; [unrolled: 1-line block ×3, first 2 shown]
	s_delay_alu instid0(VALU_DEP_4)
	v_dual_add_f32 v22, v119, v66 :: v_dual_add_f32 v11, v86, v11
	v_add_f32_e32 v23, v120, v109
	v_dual_add_f32 v24, v81, v73 :: v_dual_add_f32 v19, v88, v19
	v_dual_add_f32 v63, v121, v110 :: v_dual_add_f32 v66, v83, v75
	v_add_f32_e32 v73, v84, v76
	v_dual_add_f32 v75, v124, v113 :: v_dual_add_f32 v6, v6, v20
	v_dual_add_f32 v74, v123, v112 :: v_dual_add_f32 v21, v128, v23
	v_add_f32_e32 v4, v26, v4
	v_add_f32_e32 v8, v27, v8
	v_dual_add_f32 v10, v85, v10 :: v_dual_add_f32 v5, v56, v5
	v_dual_add_f32 v12, v125, v12 :: v_dual_add_f32 v7, v7, v15
	;; [unrolled: 1-line block ×4, first 2 shown]
	v_add_f32_e32 v11, v97, v11
	s_delay_alu instid0(VALU_DEP_3)
	v_dual_add_f32 v22, v89, v24 :: v_dual_add_f32 v13, v136, v13
	v_add_f32_e32 v23, v90, v25
	v_dual_add_f32 v25, v130, v65 :: v_dual_add_f32 v24, v129, v63
	v_dual_add_f32 v26, v91, v66 :: v_dual_add_f32 v15, v98, v19
	v_add_f32_e32 v27, v92, v73
	v_dual_add_f32 v29, v132, v75 :: v_dual_add_f32 v6, v6, v14
	v_dual_add_f32 v28, v131, v74 :: v_dual_add_f32 v19, v137, v21
	v_add_f32_e32 v4, v30, v4
	v_add_f32_e32 v8, v31, v8
	v_dual_add_f32 v14, v94, v18 :: v_dual_add_f32 v31, v7, v17
	v_dual_add_f32 v18, v133, v20 :: v_dual_add_f32 v7, v144, v13
	v_add_f32_e32 v20, v95, v22
	v_dual_add_f32 v22, v99, v23 :: v_dual_add_f32 v23, v138, v25
	v_dual_add_f32 v10, v93, v10 :: v_dual_add_f32 v21, v134, v24
	;; [unrolled: 1-line block ×3, first 2 shown]
	v_add_f32_e32 v25, v100, v27
	v_dual_add_f32 v27, v139, v29 :: v_dual_add_f32 v30, v6, v16
	v_dual_add_f32 v12, v55, v12 :: v_dual_add_f32 v17, v105, v11
	v_add_f32_e32 v26, v135, v28
	v_dual_add_f32 v28, v60, v5 :: v_dual_add_f32 v11, v146, v23
	v_add_f32_e32 v29, v58, v4
	;; [unrolled: 2-line block ×3, first 2 shown]
	v_add_f32_e32 v8, v141, v18
	v_add_f32_e32 v10, v142, v21
	v_dual_add_f32 v18, v104, v24 :: v_dual_add_f32 v21, v147, v27
	v_dual_add_f32 v23, v30, v0 :: v_dual_add_f32 v24, v31, v1
	v_add_f32_e32 v9, v145, v19
	v_add_f32_e32 v19, v108, v25
	v_dual_add_f32 v6, v140, v12 :: v_dual_add_f32 v13, v107, v22
	v_add_f32_e32 v12, v103, v20
	v_add_f32_e32 v20, v143, v26
	v_dual_add_f32 v0, v64, v28 :: v_dual_add_f32 v1, v62, v29
	v_dual_add_f32 v14, v102, v14 :: v_dual_add_f32 v3, v24, v3
	v_add_f32_e32 v2, v23, v2
	ds_store_2addr_b64 v71, v[10:11], v[20:21] offset0:4 offset1:5
	ds_store_2addr_b64 v71, v[0:1], v[18:19] offset0:6 offset1:7
	;; [unrolled: 1-line block ×3, first 2 shown]
	ds_store_b64 v71, v[16:17] offset:80
	ds_store_2addr_b64 v71, v[2:3], v[4:5] offset1:1
	ds_store_2addr_b64 v71, v[6:7], v[8:9] offset0:2 offset1:3
	global_wb scope:SCOPE_SE
	s_wait_dscnt 0x0
	s_barrier_signal -1
	s_barrier_wait -1
	global_inv scope:SCOPE_SE
	ds_load_2addr_b64 v[20:23], v68 offset0:4 offset1:11
	ds_load_2addr_b64 v[24:27], v68 offset0:15 offset1:22
	;; [unrolled: 1-line block ×3, first 2 shown]
	ds_load_b64 v[63:64], v69
	ds_load_b64 v[65:66], v68 offset:296
	v_add_co_u32 v61, s0, s8, v70
	s_wait_alu 0xf1ff
	v_add_co_ci_u32_e64 v62, null, s9, 0, s0
	v_cmp_eq_u32_e64 s0, 3, v67
	s_and_saveexec_b32 s1, vcc_lo
	s_cbranch_execz .LBB0_3
; %bb.2:
	ds_load_2addr_b64 v[12:15], v68 offset0:8 offset1:19
	ds_load_2addr_b64 v[16:19], v68 offset0:30 offset1:41
.LBB0_3:
	s_wait_alu 0xfffe
	s_or_b32 exec_lo, exec_lo, s1
	v_mad_co_u64_u32 v[0:1], null, v67, 24, s[10:11]
	s_clause 0x3
	global_load_b128 v[8:11], v[0:1], off
	global_load_b64 v[59:60], v[0:1], off offset:16
	global_load_b128 v[4:7], v[0:1], off offset:96
	global_load_b64 v[57:58], v[0:1], off offset:112
	v_or_b32_e32 v0, 8, v67
	s_delay_alu instid0(VALU_DEP_1) | instskip(SKIP_1) | instid1(VALU_DEP_2)
	v_mul_hi_u32_u24_e32 v1, 3, v0
	v_mul_u32_u24_e32 v0, 3, v0
	v_cndmask_b32_e64 v1, v1, 0, s0
	s_delay_alu instid0(VALU_DEP_2) | instskip(NEXT) | instid1(VALU_DEP_1)
	v_cndmask_b32_e64 v0, v0, 0, s0
	v_lshlrev_b64_e32 v[0:1], 3, v[0:1]
	s_delay_alu instid0(VALU_DEP_1) | instskip(SKIP_1) | instid1(VALU_DEP_2)
	v_add_co_u32 v55, s0, s10, v0
	s_wait_alu 0xf1ff
	v_add_co_ci_u32_e64 v56, s0, s11, v1, s0
	s_clause 0x1
	global_load_b128 v[0:3], v[55:56], off
	global_load_b64 v[55:56], v[55:56], off offset:16
	s_wait_loadcnt_dscnt 0x503
	v_dual_mul_f32 v73, v23, v9 :: v_dual_mul_f32 v76, v26, v11
	s_wait_loadcnt_dscnt 0x200
	v_dual_mul_f32 v82, v28, v7 :: v_dual_mul_f32 v83, v66, v58
	v_dual_mul_f32 v74, v22, v9 :: v_dual_mul_f32 v75, v27, v11
	;; [unrolled: 1-line block ×4, first 2 shown]
	s_delay_alu instid0(VALU_DEP_3)
	v_dual_mul_f32 v81, v29, v7 :: v_dual_fmac_f32 v74, v23, v8
	v_fmac_f32_e32 v82, v29, v6
	v_fma_f32 v22, v22, v8, -v73
	v_fma_f32 v23, v26, v10, -v75
	;; [unrolled: 1-line block ×3, first 2 shown]
	v_fmac_f32_e32 v78, v31, v59
	v_fma_f32 v24, v24, v4, -v79
	v_fmac_f32_e32 v76, v27, v10
	v_fma_f32 v27, v65, v57, -v83
	v_sub_f32_e32 v31, v21, v82
	v_fmac_f32_e32 v80, v25, v4
	v_fma_f32 v25, v28, v6, -v81
	s_delay_alu instid0(VALU_DEP_1) | instskip(SKIP_4) | instid1(VALU_DEP_3)
	v_sub_f32_e32 v30, v20, v25
	v_dual_sub_f32 v25, v24, v27 :: v_dual_mul_f32 v84, v65, v58
	v_sub_f32_e32 v29, v64, v76
	s_wait_loadcnt 0x1
	v_mul_f32_e32 v77, v17, v3
	v_fma_f32 v65, v24, 2.0, -v25
	s_wait_loadcnt 0x0
	v_mul_f32_e32 v79, v19, v56
	v_fma_f32 v76, v20, 2.0, -v30
	v_dual_sub_f32 v28, v63, v23 :: v_dual_sub_f32 v23, v22, v26
	v_sub_f32_e32 v26, v74, v78
	v_mul_f32_e32 v20, v14, v1
	v_fma_f32 v75, v64, 2.0, -v29
	v_fmac_f32_e32 v84, v66, v57
	v_fma_f32 v66, v63, 2.0, -v28
	v_fma_f32 v64, v74, 2.0, -v26
	v_mul_f32_e32 v74, v15, v1
	v_fmac_f32_e32 v20, v15, v0
	v_fma_f32 v15, v16, v2, -v77
	v_fma_f32 v63, v22, 2.0, -v23
	v_add_f32_e32 v23, v29, v23
	v_add_f32_e32 v25, v31, v25
	v_sub_f32_e32 v27, v80, v84
	v_sub_f32_e32 v15, v12, v15
	v_fma_f32 v14, v14, v0, -v74
	v_mul_f32_e32 v78, v16, v3
	v_sub_f32_e32 v22, v28, v26
	v_fma_f32 v73, v80, 2.0, -v27
	v_dual_sub_f32 v24, v30, v27 :: v_dual_sub_f32 v27, v75, v64
	s_delay_alu instid0(VALU_DEP_4) | instskip(SKIP_3) | instid1(VALU_DEP_3)
	v_fmac_f32_e32 v78, v17, v2
	v_fma_f32 v17, v18, v55, -v79
	v_fma_f32 v21, v21, 2.0, -v31
	v_dual_sub_f32 v26, v66, v63 :: v_dual_sub_f32 v63, v76, v65
	v_dual_sub_f32 v16, v13, v78 :: v_dual_sub_f32 v17, v14, v17
	v_mul_f32_e32 v80, v18, v56
	s_delay_alu instid0(VALU_DEP_4) | instskip(NEXT) | instid1(VALU_DEP_4)
	v_sub_f32_e32 v64, v21, v73
	v_fma_f32 v73, v66, 2.0, -v26
	v_fma_f32 v66, v31, 2.0, -v25
	s_delay_alu instid0(VALU_DEP_4)
	v_dual_add_f32 v31, v16, v17 :: v_dual_fmac_f32 v80, v19, v55
	v_fma_f32 v65, v30, 2.0, -v24
	v_fma_f32 v74, v75, 2.0, -v27
	;; [unrolled: 1-line block ×4, first 2 shown]
	v_sub_f32_e32 v18, v20, v80
	v_fma_f32 v75, v76, 2.0, -v63
	v_fma_f32 v76, v21, 2.0, -v64
	ds_store_b64 v69, v[73:74]
	ds_store_2addr_b64 v68, v[75:76], v[28:29] offset0:4 offset1:11
	ds_store_2addr_b64 v68, v[65:66], v[26:27] offset0:15 offset1:22
	ds_store_2addr_b64 v68, v[63:64], v[22:23] offset0:26 offset1:33
	ds_store_b64 v68, v[24:25] offset:296
	v_sub_f32_e32 v30, v15, v18
	s_and_saveexec_b32 s0, vcc_lo
	s_cbranch_execz .LBB0_5
; %bb.4:
	v_fma_f32 v19, v13, 2.0, -v16
	v_fma_f32 v13, v20, 2.0, -v18
	;; [unrolled: 1-line block ×6, first 2 shown]
	s_delay_alu instid0(VALU_DEP_3) | instskip(NEXT) | instid1(VALU_DEP_1)
	v_dual_sub_f32 v13, v19, v13 :: v_dual_sub_f32 v12, v20, v12
	v_fma_f32 v18, v19, 2.0, -v13
	s_delay_alu instid0(VALU_DEP_2)
	v_fma_f32 v17, v20, 2.0, -v12
	ds_store_2addr_b64 v68, v[17:18], v[15:16] offset0:8 offset1:19
	ds_store_2addr_b64 v68, v[12:13], v[30:31] offset0:30 offset1:41
.LBB0_5:
	s_wait_alu 0xfffe
	s_or_b32 exec_lo, exec_lo, s0
	global_wb scope:SCOPE_SE
	s_wait_dscnt 0x0
	s_barrier_signal -1
	s_barrier_wait -1
	global_inv scope:SCOPE_SE
	global_load_b64 v[12:13], v[61:62], off offset:352
	s_add_nc_u64 s[0:1], s[8:9], 0x160
	s_clause 0x9
	global_load_b64 v[28:29], v70, s[0:1] offset:32
	global_load_b64 v[61:62], v70, s[0:1] offset:64
	;; [unrolled: 1-line block ×10, first 2 shown]
	ds_load_b64 v[14:15], v69
	v_lshl_add_u32 v70, v72, 3, v70
	s_wait_loadcnt_dscnt 0xa00
	v_mul_f32_e32 v16, v15, v13
	v_mul_f32_e32 v17, v14, v13
	s_delay_alu instid0(VALU_DEP_2) | instskip(NEXT) | instid1(VALU_DEP_2)
	v_fma_f32 v16, v14, v12, -v16
	v_fmac_f32_e32 v17, v15, v12
	ds_store_b64 v69, v[16:17]
	ds_load_2addr_b64 v[12:15], v68 offset0:4 offset1:12
	ds_load_b64 v[85:86], v70 offset:64
	ds_load_2addr_b64 v[16:19], v68 offset0:16 offset1:20
	ds_load_2addr_b64 v[20:23], v68 offset0:24 offset1:28
	;; [unrolled: 1-line block ×3, first 2 shown]
	ds_load_b64 v[87:88], v68 offset:320
	s_wait_loadcnt_dscnt 0x905
	v_mul_f32_e32 v72, v13, v29
	s_wait_loadcnt_dscnt 0x804
	v_dual_mul_f32 v90, v12, v29 :: v_dual_mul_f32 v29, v85, v62
	s_wait_loadcnt 0x7
	v_dual_mul_f32 v91, v86, v62 :: v_dual_mul_f32 v92, v15, v64
	s_wait_loadcnt_dscnt 0x603
	v_dual_mul_f32 v62, v14, v64 :: v_dual_mul_f32 v93, v17, v66
	s_wait_loadcnt_dscnt 0x402
	v_dual_mul_f32 v64, v16, v66 :: v_dual_mul_f32 v95, v21, v76
	s_wait_loadcnt_dscnt 0x201
	v_dual_mul_f32 v94, v19, v74 :: v_dual_mul_f32 v97, v25, v80
	s_wait_loadcnt_dscnt 0x0
	v_dual_mul_f32 v66, v18, v74 :: v_dual_mul_f32 v99, v88, v84
	v_dual_mul_f32 v74, v20, v76 :: v_dual_fmac_f32 v29, v86, v61
	v_mul_f32_e32 v96, v23, v78
	v_mul_f32_e32 v76, v22, v78
	;; [unrolled: 1-line block ×6, first 2 shown]
	v_fma_f32 v89, v12, v28, -v72
	v_fmac_f32_e32 v90, v13, v28
	v_fma_f32 v28, v85, v61, -v91
	v_fma_f32 v61, v14, v63, -v92
	v_fmac_f32_e32 v62, v15, v63
	v_fma_f32 v63, v16, v65, -v93
	v_fmac_f32_e32 v64, v17, v65
	;; [unrolled: 2-line block ×8, first 2 shown]
	ds_store_2addr_b64 v68, v[89:90], v[61:62] offset0:4 offset1:12
	ds_store_2addr_b64 v68, v[63:64], v[65:66] offset0:16 offset1:20
	;; [unrolled: 1-line block ×4, first 2 shown]
	ds_store_b64 v70, v[28:29] offset:64
	ds_store_b64 v68, v[81:82] offset:320
	global_wb scope:SCOPE_SE
	s_wait_dscnt 0x0
	s_barrier_signal -1
	s_barrier_wait -1
	global_inv scope:SCOPE_SE
	ds_load_b64 v[26:27], v69
	ds_load_2addr_b64 v[61:64], v68 offset0:4 offset1:12
	ds_load_b64 v[24:25], v68 offset:320
	ds_load_b64 v[28:29], v70 offset:64
	ds_load_2addr_b64 v[12:15], v68 offset0:32 offset1:36
	ds_load_2addr_b64 v[20:23], v68 offset0:16 offset1:20
	ds_load_2addr_b64 v[16:19], v68 offset0:24 offset1:28
	global_wb scope:SCOPE_SE
	s_wait_dscnt 0x0
	s_barrier_signal -1
	s_barrier_wait -1
	global_inv scope:SCOPE_SE
	v_add_f32_e32 v65, v26, v61
	v_add_f32_e32 v73, v25, v62
	v_add_f32_e32 v66, v27, v62
	v_add_f32_e32 v75, v15, v29
	v_dual_sub_f32 v62, v62, v25 :: v_dual_sub_f32 v77, v29, v15
	v_dual_add_f32 v72, v24, v61 :: v_dual_sub_f32 v61, v61, v24
	s_delay_alu instid0(VALU_DEP_3)
	v_dual_mul_f32 v99, 0xbf27a4f4, v75 :: v_dual_add_f32 v74, v14, v28
	v_dual_mul_f32 v95, 0xbf27a4f4, v73 :: v_dual_sub_f32 v76, v28, v14
	v_add_f32_e32 v79, v13, v64
	v_dual_sub_f32 v80, v63, v12 :: v_dual_mul_f32 v103, 0xbe11bafb, v75
	v_dual_sub_f32 v81, v64, v13 :: v_dual_add_f32 v82, v18, v20
	v_add_f32_e32 v83, v19, v21
	v_sub_f32_e32 v85, v21, v19
	v_dual_sub_f32 v89, v23, v17 :: v_dual_add_f32 v28, v65, v28
	v_mul_f32_e32 v111, 0x3f575c64, v79
	v_mul_f32_e32 v91, 0x3ed4b147, v73
	;; [unrolled: 1-line block ×3, first 2 shown]
	v_add_f32_e32 v29, v66, v29
	v_dual_mul_f32 v66, 0x3f575c64, v73 :: v_dual_mul_f32 v117, 0x3f575c64, v83
	v_mul_f32_e32 v73, 0xbf75a155, v73
	v_mul_f32_e32 v97, 0x3ed4b147, v75
	;; [unrolled: 1-line block ×8, first 2 shown]
	v_add_f32_e32 v78, v12, v63
	v_dual_sub_f32 v84, v20, v18 :: v_dual_mul_f32 v105, 0xbe11bafb, v79
	v_dual_add_f32 v86, v16, v22 :: v_dual_mul_f32 v107, 0xbf75a155, v79
	v_dual_add_f32 v87, v17, v23 :: v_dual_sub_f32 v88, v22, v16
	v_mul_f32_e32 v109, 0x3ed4b147, v79
	v_dual_mul_f32 v90, 0xbf68dda4, v62 :: v_dual_add_f32 v29, v29, v64
	v_mul_f32_e32 v62, 0xbe903f40, v62
	v_mul_f32_e32 v96, 0xbf68dda4, v77
	v_dual_mul_f32 v100, 0x3e903f40, v77 :: v_dual_fmamk_f32 v135, v61, 0x3e903f40, v73
	v_dual_mul_f32 v102, 0x3f7d64f0, v77 :: v_dual_fmamk_f32 v131, v61, 0x3f7d64f0, v93
	v_mul_f32_e32 v77, 0x3f0a6770, v77
	v_dual_mul_f32 v104, 0xbf7d64f0, v81 :: v_dual_fmamk_f32 v141, v76, 0xbf7d64f0, v103
	v_mul_f32_e32 v106, 0x3e903f40, v81
	v_dual_mul_f32 v108, 0x3f68dda4, v81 :: v_dual_fmamk_f32 v129, v61, 0x3f68dda4, v91
	v_dual_mul_f32 v110, 0xbf0a6770, v81 :: v_dual_fmamk_f32 v143, v76, 0xbf0a6770, v75
	v_mul_f32_e32 v81, 0xbf4178ce, v81
	v_dual_mul_f32 v79, 0xbf27a4f4, v79 :: v_dual_fmamk_f32 v132, v72, 0xbf27a4f4, v94
	v_mul_f32_e32 v112, 0xbf4178ce, v85
	v_dual_mul_f32 v114, 0x3f7d64f0, v85 :: v_dual_fmac_f32 v103, 0x3f7d64f0, v76
	v_mul_f32_e32 v116, 0xbf0a6770, v85
	v_dual_mul_f32 v118, 0xbe903f40, v85 :: v_dual_fmamk_f32 v139, v76, 0xbe903f40, v101
	v_dual_mul_f32 v85, 0x3f68dda4, v85 :: v_dual_add_f32 v28, v28, v63
	v_dual_mul_f32 v120, 0xbe903f40, v89 :: v_dual_fmamk_f32 v145, v80, 0xbe903f40, v107
	v_dual_mul_f32 v122, 0x3f0a6770, v89 :: v_dual_fmac_f32 v75, 0x3f0a6770, v76
	v_mul_f32_e32 v126, 0x3f68dda4, v89
	v_dual_fmamk_f32 v63, v72, 0x3f575c64, v65 :: v_dual_fmamk_f32 v148, v78, 0x3f575c64, v110
	v_dual_fmamk_f32 v64, v61, 0x3f0a6770, v66 :: v_dual_fmamk_f32 v149, v80, 0x3f0a6770, v111
	v_fma_f32 v65, 0x3f575c64, v72, -v65
	v_fmamk_f32 v137, v76, 0x3f4178ce, v99
	v_fmac_f32_e32 v99, 0xbf4178ce, v76
	v_dual_mul_f32 v113, 0xbf27a4f4, v83 :: v_dual_fmamk_f32 v136, v74, 0xbf27a4f4, v98
	v_mul_f32_e32 v124, 0xbf4178ce, v89
	v_mul_f32_e32 v89, 0xbf7d64f0, v89
	v_dual_mul_f32 v115, 0xbe11bafb, v83 :: v_dual_fmamk_f32 v130, v72, 0xbe11bafb, v92
	v_fma_f32 v92, 0xbe11bafb, v72, -v92
	v_dual_mul_f32 v121, 0xbf75a155, v87 :: v_dual_fmamk_f32 v138, v74, 0xbf75a155, v100
	v_dual_mul_f32 v123, 0x3f575c64, v87 :: v_dual_fmamk_f32 v142, v74, 0x3f575c64, v77
	;; [unrolled: 1-line block ×5, first 2 shown]
	v_fmac_f32_e32 v66, 0xbf0a6770, v61
	v_fmamk_f32 v128, v72, 0x3ed4b147, v90
	v_fma_f32 v90, 0x3ed4b147, v72, -v90
	v_dual_fmac_f32 v91, 0xbf68dda4, v61 :: v_dual_add_f32 v20, v28, v20
	v_dual_fmac_f32 v93, 0xbf7d64f0, v61 :: v_dual_add_f32 v28, v26, v63
	v_fma_f32 v94, 0xbf27a4f4, v72, -v94
	v_fmac_f32_e32 v73, 0xbe903f40, v61
	v_dual_mul_f32 v119, 0xbf75a155, v83 :: v_dual_fmamk_f32 v134, v72, 0xbf75a155, v62
	v_mul_f32_e32 v83, 0x3ed4b147, v83
	v_fma_f32 v62, 0xbf75a155, v72, -v62
	v_dual_fmamk_f32 v72, v76, 0x3f68dda4, v97 :: v_dual_add_f32 v21, v29, v21
	v_fmac_f32_e32 v97, 0xbf68dda4, v76
	v_fma_f32 v98, 0xbf27a4f4, v74, -v98
	v_fma_f32 v100, 0xbf75a155, v74, -v100
	v_fmac_f32_e32 v101, 0x3e903f40, v76
	v_fma_f32 v102, 0xbe11bafb, v74, -v102
	v_dual_fmamk_f32 v76, v78, 0xbe11bafb, v104 :: v_dual_add_f32 v29, v27, v64
	v_fmamk_f32 v155, v84, 0x3f0a6770, v117
	v_fmac_f32_e32 v117, 0xbf0a6770, v84
	v_dual_fmamk_f32 v133, v61, 0x3f4178ce, v95 :: v_dual_add_f32 v64, v27, v66
	v_fmac_f32_e32 v95, 0xbf4178ce, v61
	v_dual_fmamk_f32 v61, v74, 0x3ed4b147, v96 :: v_dual_add_f32 v66, v27, v129
	v_fma_f32 v96, 0x3ed4b147, v74, -v96
	v_fma_f32 v74, 0x3f575c64, v74, -v77
	v_dual_fmamk_f32 v77, v80, 0x3f7d64f0, v105 :: v_dual_add_f32 v92, v26, v92
	v_add_f32_e32 v63, v26, v65
	v_fma_f32 v104, 0xbe11bafb, v78, -v104
	v_dual_fmac_f32 v105, 0xbf7d64f0, v80 :: v_dual_add_f32 v94, v26, v94
	v_fmamk_f32 v144, v78, 0xbf75a155, v106
	v_fma_f32 v106, 0xbf75a155, v78, -v106
	v_fmac_f32_e32 v107, 0x3e903f40, v80
	v_fmamk_f32 v147, v80, 0xbf68dda4, v109
	v_fma_f32 v108, 0x3ed4b147, v78, -v108
	v_fmac_f32_e32 v109, 0x3f68dda4, v80
	v_fma_f32 v110, 0x3f575c64, v78, -v110
	v_fmac_f32_e32 v111, 0xbf0a6770, v80
	v_fmamk_f32 v151, v80, 0x3f4178ce, v79
	v_fma_f32 v78, 0xbf27a4f4, v78, -v81
	v_fmac_f32_e32 v79, 0xbf4178ce, v80
	v_fmamk_f32 v80, v82, 0xbf27a4f4, v112
	v_fmamk_f32 v81, v84, 0x3f4178ce, v113
	v_fma_f32 v112, 0xbf27a4f4, v82, -v112
	v_fmac_f32_e32 v113, 0xbf4178ce, v84
	v_dual_fmamk_f32 v152, v82, 0xbe11bafb, v114 :: v_dual_add_f32 v93, v27, v93
	v_fma_f32 v114, 0xbe11bafb, v82, -v114
	v_dual_fmamk_f32 v154, v82, 0x3f575c64, v116 :: v_dual_add_f32 v129, v27, v133
	v_fma_f32 v116, 0x3f575c64, v82, -v116
	v_fmamk_f32 v156, v82, 0xbf75a155, v118
	v_fmamk_f32 v157, v84, 0x3e903f40, v119
	v_fma_f32 v118, 0xbf75a155, v82, -v118
	v_fmamk_f32 v158, v82, 0x3ed4b147, v85
	v_fmamk_f32 v159, v84, 0xbf68dda4, v83
	v_fma_f32 v82, 0x3ed4b147, v82, -v85
	v_fmamk_f32 v85, v88, 0x3e903f40, v121
	v_fmac_f32_e32 v121, 0xbe903f40, v88
	v_dual_fmamk_f32 v160, v86, 0x3f575c64, v122 :: v_dual_add_f32 v21, v21, v23
	v_fmamk_f32 v161, v88, 0xbf0a6770, v123
	v_fma_f32 v122, 0x3f575c64, v86, -v122
	v_fmac_f32_e32 v123, 0x3f0a6770, v88
	v_dual_fmamk_f32 v162, v86, 0xbf27a4f4, v124 :: v_dual_add_f32 v23, v72, v29
	v_fma_f32 v124, 0xbf27a4f4, v86, -v124
	v_dual_fmamk_f32 v164, v86, 0x3ed4b147, v126 :: v_dual_add_f32 v29, v97, v64
	v_fmamk_f32 v165, v88, 0xbf68dda4, v127
	v_fma_f32 v126, 0x3ed4b147, v86, -v126
	v_fmac_f32_e32 v127, 0x3f68dda4, v88
	v_fmamk_f32 v167, v88, 0x3f7d64f0, v87
	v_fmac_f32_e32 v87, 0xbf7d64f0, v88
	v_add_f32_e32 v65, v26, v128
	v_fmamk_f32 v166, v86, 0xbe11bafb, v89
	v_dual_add_f32 v128, v26, v132 :: v_dual_fmamk_f32 v163, v88, 0x3f4178ce, v125
	v_dual_fmac_f32 v125, 0xbf4178ce, v88 :: v_dual_add_f32 v88, v26, v90
	v_dual_add_f32 v90, v26, v130 :: v_dual_fmamk_f32 v153, v84, 0xbf7d64f0, v115
	v_dual_fmac_f32 v115, 0x3f7d64f0, v84 :: v_dual_add_f32 v20, v20, v22
	v_dual_add_f32 v130, v26, v134 :: v_dual_fmac_f32 v83, 0x3f68dda4, v84
	v_add_f32_e32 v22, v61, v28
	v_add_f32_e32 v72, v100, v92
	v_dual_fmac_f32 v119, 0xbe903f40, v84 :: v_dual_add_f32 v28, v96, v63
	v_fmamk_f32 v84, v86, 0xbf75a155, v120
	v_fma_f32 v120, 0xbf75a155, v86, -v120
	v_fma_f32 v86, 0xbe11bafb, v86, -v89
	v_add_f32_e32 v89, v27, v91
	v_add_f32_e32 v91, v27, v131
	;; [unrolled: 1-line block ×6, first 2 shown]
	v_dual_add_f32 v73, v101, v93 :: v_dual_add_f32 v16, v20, v16
	v_dual_add_f32 v89, v141, v129 :: v_dual_add_f32 v20, v76, v22
	v_add_f32_e32 v22, v104, v28
	v_add_f32_e32 v26, v26, v62
	;; [unrolled: 1-line block ×4, first 2 shown]
	v_dual_add_f32 v93, v143, v131 :: v_dual_add_f32 v16, v16, v18
	v_add_f32_e32 v18, v80, v20
	v_add_f32_e32 v20, v112, v22
	;; [unrolled: 1-line block ×6, first 2 shown]
	v_dual_add_f32 v26, v74, v26 :: v_dual_add_f32 v17, v21, v17
	v_add_f32_e32 v21, v77, v23
	v_add_f32_e32 v23, v105, v29
	v_dual_add_f32 v28, v144, v61 :: v_dual_add_f32 v29, v145, v62
	v_add_f32_e32 v62, v107, v64
	v_add_f32_e32 v64, v147, v66
	v_dual_add_f32 v66, v109, v73 :: v_dual_add_f32 v63, v98, v88
	v_dual_add_f32 v88, v140, v128 :: v_dual_add_f32 v91, v103, v95
	;; [unrolled: 1-line block ×4, first 2 shown]
	v_add_f32_e32 v74, v110, v90
	v_dual_add_f32 v76, v150, v92 :: v_dual_add_f32 v77, v151, v93
	v_add_f32_e32 v26, v78, v26
	v_dual_add_f32 v78, v117, v66 :: v_dual_add_f32 v61, v106, v63
	v_dual_add_f32 v63, v146, v65 :: v_dual_add_f32 v80, v16, v12
	v_add_f32_e32 v65, v108, v72
	v_dual_add_f32 v72, v148, v88 :: v_dual_add_f32 v75, v111, v91
	s_delay_alu instid0(VALU_DEP_3) | instskip(NEXT) | instid1(VALU_DEP_4)
	v_dual_add_f32 v16, v120, v20 :: v_dual_add_f32 v63, v154, v63
	v_add_f32_e32 v14, v80, v14
	v_dual_add_f32 v64, v155, v64 :: v_dual_add_f32 v17, v17, v19
	s_delay_alu instid0(VALU_DEP_4)
	v_add_f32_e32 v66, v156, v72
	v_add_f32_e32 v72, v157, v73
	;; [unrolled: 1-line block ×5, first 2 shown]
	v_dual_add_f32 v73, v118, v74 :: v_dual_add_f32 v74, v119, v75
	v_dual_add_f32 v75, v158, v76 :: v_dual_add_f32 v20, v160, v22
	v_add_f32_e32 v76, v159, v77
	v_add_f32_e32 v23, v153, v29
	;; [unrolled: 1-line block ×11, first 2 shown]
	v_dual_add_f32 v79, v83, v27 :: v_dual_add_f32 v14, v14, v24
	v_add_f32_e32 v22, v162, v63
	s_delay_alu instid0(VALU_DEP_4)
	v_dual_add_f32 v15, v13, v15 :: v_dual_add_f32 v26, v164, v66
	v_add_f32_e32 v17, v121, v21
	v_add_f32_e32 v21, v161, v23
	;; [unrolled: 1-line block ×5, first 2 shown]
	v_dual_add_f32 v63, v166, v75 :: v_dual_add_f32 v64, v167, v76
	v_dual_add_f32 v65, v86, v77 :: v_dual_add_f32 v66, v87, v79
	v_add_f32_e32 v13, v125, v78
	v_add_f32_e32 v19, v85, v19
	;; [unrolled: 1-line block ×3, first 2 shown]
	ds_store_2addr_b64 v71, v[26:27], v[63:64] offset0:4 offset1:5
	ds_store_2addr_b64 v71, v[65:66], v[28:29] offset0:6 offset1:7
	;; [unrolled: 1-line block ×3, first 2 shown]
	ds_store_b64 v71, v[16:17] offset:80
	ds_store_2addr_b64 v71, v[20:21], v[22:23] offset0:2 offset1:3
	ds_store_2addr_b64 v71, v[14:15], v[18:19] offset1:1
	global_wb scope:SCOPE_SE
	s_wait_dscnt 0x0
	s_barrier_signal -1
	s_barrier_wait -1
	global_inv scope:SCOPE_SE
	ds_load_2addr_b64 v[18:21], v68 offset0:4 offset1:11
	ds_load_2addr_b64 v[26:29], v68 offset0:15 offset1:22
	;; [unrolled: 1-line block ×3, first 2 shown]
	ds_load_b64 v[65:66], v69
	ds_load_b64 v[63:64], v68 offset:296
	s_and_saveexec_b32 s0, vcc_lo
	s_cbranch_execz .LBB0_7
; %bb.6:
	ds_load_2addr_b64 v[14:17], v68 offset0:19 offset1:30
	ds_load_b64 v[12:13], v70 offset:64
	ds_load_b64 v[30:31], v68 offset:328
	s_wait_dscnt 0x2
	v_dual_mov_b32 v61, v14 :: v_dual_mov_b32 v62, v15
.LBB0_7:
	s_wait_alu 0xfffe
	s_or_b32 exec_lo, exec_lo, s0
	s_wait_dscnt 0x4
	v_mul_f32_e32 v14, v9, v21
	s_wait_dscnt 0x3
	v_mul_f32_e32 v15, v11, v29
	v_mul_f32_e32 v9, v9, v20
	;; [unrolled: 1-line block ×3, first 2 shown]
	v_fmac_f32_e32 v14, v8, v20
	s_delay_alu instid0(VALU_DEP_4) | instskip(NEXT) | instid1(VALU_DEP_3)
	v_dual_fmac_f32 v15, v10, v28 :: v_dual_mul_f32 v20, v5, v27
	v_fma_f32 v10, v10, v29, -v11
	s_wait_dscnt 0x2
	v_mul_f32_e32 v11, v60, v24
	s_delay_alu instid0(VALU_DEP_3) | instskip(SKIP_4) | instid1(VALU_DEP_2)
	v_fmac_f32_e32 v20, v4, v26
	v_fma_f32 v8, v8, v21, -v9
	v_mul_f32_e32 v9, v60, v25
	v_mul_f32_e32 v21, v7, v23
	;; [unrolled: 1-line block ×3, first 2 shown]
	v_fmac_f32_e32 v21, v6, v22
	s_delay_alu instid0(VALU_DEP_4) | instskip(NEXT) | instid1(VALU_DEP_3)
	v_fmac_f32_e32 v9, v59, v24
	v_fma_f32 v24, v4, v27, -v5
	s_delay_alu instid0(VALU_DEP_3) | instskip(NEXT) | instid1(VALU_DEP_3)
	v_sub_f32_e32 v26, v18, v21
	v_sub_f32_e32 v9, v14, v9
	s_delay_alu instid0(VALU_DEP_2) | instskip(NEXT) | instid1(VALU_DEP_2)
	v_fma_f32 v27, v18, 2.0, -v26
	v_fma_f32 v4, v14, 2.0, -v9
	s_wait_dscnt 0x0
	v_mul_f32_e32 v14, v58, v63
	v_fma_f32 v11, v59, v25, -v11
	v_sub_f32_e32 v15, v65, v15
	s_delay_alu instid0(VALU_DEP_3) | instskip(NEXT) | instid1(VALU_DEP_1)
	v_fma_f32 v14, v57, v64, -v14
	v_sub_f32_e32 v21, v24, v14
	v_mul_f32_e32 v5, v7, v22
	v_sub_f32_e32 v22, v66, v10
	v_dual_sub_f32 v10, v8, v11 :: v_dual_mul_f32 v11, v58, v64
	v_fma_f32 v7, v65, 2.0, -v15
	s_delay_alu instid0(VALU_DEP_4) | instskip(NEXT) | instid1(VALU_DEP_4)
	v_fma_f32 v23, v6, v23, -v5
	v_fma_f32 v25, v66, 2.0, -v22
	s_delay_alu instid0(VALU_DEP_4) | instskip(NEXT) | instid1(VALU_DEP_4)
	v_fma_f32 v8, v8, 2.0, -v10
	v_dual_fmac_f32 v11, v57, v63 :: v_dual_sub_f32 v4, v7, v4
	s_delay_alu instid0(VALU_DEP_4) | instskip(SKIP_1) | instid1(VALU_DEP_4)
	v_sub_f32_e32 v23, v19, v23
	v_fma_f32 v18, v24, 2.0, -v21
	v_sub_f32_e32 v5, v25, v8
	s_delay_alu instid0(VALU_DEP_4) | instskip(NEXT) | instid1(VALU_DEP_4)
	v_dual_sub_f32 v11, v20, v11 :: v_dual_add_f32 v8, v15, v10
	v_fma_f32 v28, v19, 2.0, -v23
	v_sub_f32_e32 v9, v22, v9
	v_fma_f32 v6, v7, 2.0, -v4
	s_delay_alu instid0(VALU_DEP_4) | instskip(SKIP_3) | instid1(VALU_DEP_4)
	v_fma_f32 v14, v20, 2.0, -v11
	v_fma_f32 v10, v15, 2.0, -v8
	v_dual_sub_f32 v15, v28, v18 :: v_dual_add_f32 v18, v26, v21
	v_sub_f32_e32 v19, v23, v11
	v_sub_f32_e32 v14, v27, v14
	v_fma_f32 v7, v25, 2.0, -v5
	v_fma_f32 v11, v22, 2.0, -v9
	;; [unrolled: 1-line block ×6, first 2 shown]
	ds_store_b64 v69, v[6:7]
	ds_store_2addr_b64 v68, v[20:21], v[10:11] offset0:4 offset1:11
	ds_store_2addr_b64 v68, v[22:23], v[4:5] offset0:15 offset1:22
	;; [unrolled: 1-line block ×3, first 2 shown]
	ds_store_b64 v68, v[18:19] offset:296
	s_and_saveexec_b32 s0, vcc_lo
	s_cbranch_execz .LBB0_9
; %bb.8:
	v_dual_mul_f32 v4, v3, v16 :: v_dual_mul_f32 v5, v1, v62
	v_dual_mul_f32 v3, v3, v17 :: v_dual_mul_f32 v6, v56, v30
	s_delay_alu instid0(VALU_DEP_2) | instskip(NEXT) | instid1(VALU_DEP_3)
	v_fma_f32 v4, v2, v17, -v4
	v_fmac_f32_e32 v5, v0, v61
	s_delay_alu instid0(VALU_DEP_3) | instskip(SKIP_1) | instid1(VALU_DEP_4)
	v_fmac_f32_e32 v3, v2, v16
	v_mul_f32_e32 v1, v1, v61
	v_dual_mul_f32 v7, v56, v31 :: v_dual_sub_f32 v4, v13, v4
	s_delay_alu instid0(VALU_DEP_2) | instskip(SKIP_1) | instid1(VALU_DEP_1)
	v_fma_f32 v0, v0, v62, -v1
	v_fma_f32 v1, v55, v31, -v6
	v_sub_f32_e32 v2, v0, v1
	v_sub_f32_e32 v6, v12, v3
	s_delay_alu instid0(VALU_DEP_2) | instskip(NEXT) | instid1(VALU_DEP_2)
	v_fma_f32 v3, v0, 2.0, -v2
	v_fma_f32 v8, v12, 2.0, -v6
	v_fmac_f32_e32 v7, v55, v30
	s_delay_alu instid0(VALU_DEP_1) | instskip(SKIP_1) | instid1(VALU_DEP_2)
	v_dual_add_f32 v0, v6, v2 :: v_dual_sub_f32 v1, v5, v7
	v_fma_f32 v7, v13, 2.0, -v4
	v_fma_f32 v5, v5, 2.0, -v1
	v_sub_f32_e32 v1, v4, v1
	s_delay_alu instid0(VALU_DEP_2) | instskip(NEXT) | instid1(VALU_DEP_2)
	v_dual_sub_f32 v3, v7, v3 :: v_dual_sub_f32 v2, v8, v5
	v_fma_f32 v5, v4, 2.0, -v1
	v_fma_f32 v4, v6, 2.0, -v0
	s_delay_alu instid0(VALU_DEP_3) | instskip(NEXT) | instid1(VALU_DEP_4)
	v_fma_f32 v7, v7, 2.0, -v3
	v_fma_f32 v6, v8, 2.0, -v2
	ds_store_2addr_b64 v68, v[4:5], v[2:3] offset0:19 offset1:30
	ds_store_b64 v70, v[6:7] offset:64
	ds_store_b64 v68, v[0:1] offset:328
.LBB0_9:
	s_wait_alu 0xfffe
	s_or_b32 exec_lo, exec_lo, s0
	global_wb scope:SCOPE_SE
	s_wait_dscnt 0x0
	s_barrier_signal -1
	s_barrier_wait -1
	global_inv scope:SCOPE_SE
	ds_load_b64 v[16:17], v69
	ds_load_2addr_b64 v[0:3], v68 offset0:4 offset1:12
	ds_load_b64 v[18:19], v70 offset:64
	ds_load_2addr_b64 v[8:11], v68 offset0:24 offset1:28
	ds_load_2addr_b64 v[4:7], v68 offset0:16 offset1:20
	;; [unrolled: 1-line block ×3, first 2 shown]
	ds_load_b64 v[24:25], v68 offset:320
	v_mad_co_u64_u32 v[20:21], null, s6, v32, 0
	v_mad_co_u64_u32 v[22:23], null, s4, v67, 0
	s_mov_b32 s0, 0x745d1746
	s_mov_b32 s1, 0x3f9745d1
	s_wait_dscnt 0x5
	v_dual_mul_f32 v28, v34, v16 :: v_dual_mul_f32 v29, v36, v1
	v_mul_f32_e32 v26, v34, v17
	s_wait_dscnt 0x4
	v_dual_mul_f32 v30, v36, v0 :: v_dual_mul_f32 v31, v38, v19
	s_wait_dscnt 0x1
	v_dual_mul_f32 v34, v38, v18 :: v_dual_mul_f32 v57, v48, v13
	v_mul_f32_e32 v55, v46, v9
	v_mul_f32_e32 v46, v46, v8
	v_fmac_f32_e32 v29, v35, v0
	v_fmac_f32_e32 v26, v33, v16
	v_dual_mul_f32 v16, v40, v3 :: v_dual_fmac_f32 v31, v37, v18
	v_dual_mul_f32 v36, v40, v2 :: v_dual_fmac_f32 v55, v45, v8
	;; [unrolled: 1-line block ×3, first 2 shown]
	v_mul_f32_e32 v40, v42, v4
	v_mul_f32_e32 v56, v50, v11
	;; [unrolled: 1-line block ×3, first 2 shown]
	v_fma_f32 v18, v37, v19, -v34
	v_fma_f32 v37, v45, v9, -v46
	v_mul_f32_e32 v45, v52, v15
	v_mul_f32_e32 v46, v52, v14
	;; [unrolled: 1-line block ×3, first 2 shown]
	v_fma_f32 v17, v33, v17, -v28
	v_fma_f32 v28, v35, v1, -v30
	v_fmac_f32_e32 v38, v41, v4
	v_fma_f32 v30, v41, v5, -v40
	v_fmac_f32_e32 v56, v49, v10
	v_fma_f32 v41, v49, v11, -v50
	s_wait_dscnt 0x0
	v_mul_f32_e32 v49, v54, v24
	v_mul_f32_e32 v12, v48, v12
	;; [unrolled: 1-line block ×3, first 2 shown]
	v_fma_f32 v46, v51, v15, -v46
	v_cvt_f64_f32_e32 v[26:27], v26
	v_cvt_f64_f32_e32 v[0:1], v17
	v_fma_f32 v12, v47, v13, -v12
	v_fmac_f32_e32 v48, v53, v24
	v_fma_f32 v47, v53, v25, -v49
	v_cvt_f64_f32_e32 v[24:25], v46
	v_mad_co_u64_u32 v[49:50], null, s7, v32, v[21:22]
	v_fma_f32 v19, v39, v3, -v36
	v_cvt_f64_f32_e32 v[4:5], v28
	v_fmac_f32_e32 v45, v51, v14
	v_mul_f32_e32 v44, v44, v6
	v_fmac_f32_e32 v42, v43, v6
	v_cvt_f64_f32_e32 v[8:9], v18
	v_mov_b32_e32 v21, v49
	v_cvt_f64_f32_e32 v[35:36], v55
	v_fma_f32 v33, v43, v7, -v44
	v_cvt_f64_f32_e32 v[6:7], v31
	v_cvt_f64_f32_e32 v[43:44], v57
	;; [unrolled: 1-line block ×7, first 2 shown]
	v_lshlrev_b64_e32 v[20:21], 3, v[20:21]
	s_delay_alu instid0(VALU_DEP_1)
	v_add_co_u32 v49, vcc_lo, s2, v20
	s_wait_alu 0xfffe
	v_mul_f64_e32 v[26:27], s[0:1], v[26:27]
	v_mul_f64_e32 v[0:1], s[0:1], v[0:1]
	v_mad_co_u64_u32 v[50:51], null, s5, v67, v[23:24]
	v_fmac_f32_e32 v16, v39, v2
	v_cvt_f64_f32_e32 v[2:3], v29
	v_cvt_f64_f32_e32 v[28:29], v30
	v_cvt_f64_f32_e32 v[30:31], v42
	v_cvt_f64_f32_e32 v[39:40], v56
	v_cvt_f64_f32_e32 v[41:42], v41
	v_mov_b32_e32 v23, v50
	v_cvt_f64_f32_e32 v[10:11], v16
	v_cvt_f64_f32_e32 v[16:17], v19
	;; [unrolled: 1-line block ×4, first 2 shown]
	v_mul_f64_e32 v[4:5], s[0:1], v[4:5]
	v_mul_f64_e32 v[6:7], s[0:1], v[6:7]
	;; [unrolled: 1-line block ×6, first 2 shown]
	s_wait_alu 0xfffd
	v_add_co_ci_u32_e32 v50, vcc_lo, s3, v21, vcc_lo
	v_lshlrev_b64_e32 v[22:23], 3, v[22:23]
	v_cvt_f32_f64_e32 v20, v[26:27]
	v_cvt_f32_f64_e32 v21, v[0:1]
	s_delay_alu instid0(VALU_DEP_3) | instskip(SKIP_1) | instid1(VALU_DEP_4)
	v_add_co_u32 v0, vcc_lo, v49, v22
	s_wait_alu 0xfffd
	v_add_co_ci_u32_e32 v1, vcc_lo, v50, v23, vcc_lo
	v_mul_f64_e32 v[2:3], s[0:1], v[2:3]
	v_mul_f64_e32 v[28:29], s[0:1], v[28:29]
	;; [unrolled: 1-line block ×14, first 2 shown]
	v_cvt_f32_f64_e32 v6, v[6:7]
	v_cvt_f32_f64_e32 v7, v[8:9]
	s_lshl_b64 s[0:1], s[4:5], 5
	global_store_b64 v[0:1], v[20:21], off
	v_cvt_f32_f64_e32 v2, v[2:3]
	v_cvt_f32_f64_e32 v3, v[4:5]
	s_wait_alu 0xfffe
	v_add_co_u32 v4, vcc_lo, v0, s0
	s_wait_alu 0xfffd
	v_add_co_ci_u32_e32 v5, vcc_lo, s1, v1, vcc_lo
	v_cvt_f32_f64_e32 v10, v[10:11]
	s_delay_alu instid0(VALU_DEP_3) | instskip(SKIP_1) | instid1(VALU_DEP_3)
	v_add_co_u32 v8, vcc_lo, v4, s0
	s_wait_alu 0xfffd
	v_add_co_ci_u32_e32 v9, vcc_lo, s1, v5, vcc_lo
	v_cvt_f32_f64_e32 v11, v[16:17]
	v_cvt_f32_f64_e32 v16, v[18:19]
	;; [unrolled: 1-line block ×5, first 2 shown]
	v_add_co_u32 v18, vcc_lo, v8, s0
	v_cvt_f32_f64_e32 v26, v[32:33]
	v_cvt_f32_f64_e32 v27, v[34:35]
	;; [unrolled: 1-line block ×4, first 2 shown]
	s_wait_alu 0xfffd
	v_add_co_ci_u32_e32 v19, vcc_lo, s1, v9, vcc_lo
	v_cvt_f32_f64_e32 v30, v[40:41]
	v_cvt_f32_f64_e32 v31, v[12:13]
	v_cvt_f32_f64_e32 v12, v[14:15]
	v_cvt_f32_f64_e32 v13, v[24:25]
	v_cvt_f32_f64_e32 v14, v[42:43]
	v_cvt_f32_f64_e32 v15, v[44:45]
	v_add_co_u32 v24, vcc_lo, v18, s0
	s_wait_alu 0xfffd
	v_add_co_ci_u32_e32 v25, vcc_lo, s1, v19, vcc_lo
	s_delay_alu instid0(VALU_DEP_2) | instskip(SKIP_1) | instid1(VALU_DEP_2)
	v_add_co_u32 v0, vcc_lo, v24, s0
	s_wait_alu 0xfffd
	v_add_co_ci_u32_e32 v1, vcc_lo, s1, v25, vcc_lo
	global_store_b64 v[4:5], v[2:3], off
	v_add_co_u32 v2, vcc_lo, v0, s0
	s_wait_alu 0xfffd
	v_add_co_ci_u32_e32 v3, vcc_lo, s1, v1, vcc_lo
	global_store_b64 v[8:9], v[6:7], off
	v_add_co_u32 v4, vcc_lo, v2, s0
	s_wait_alu 0xfffd
	v_add_co_ci_u32_e32 v5, vcc_lo, s1, v3, vcc_lo
	global_store_b64 v[18:19], v[10:11], off
	v_add_co_u32 v6, vcc_lo, v4, s0
	s_wait_alu 0xfffd
	v_add_co_ci_u32_e32 v7, vcc_lo, s1, v5, vcc_lo
	global_store_b64 v[24:25], v[16:17], off
	v_add_co_u32 v8, vcc_lo, v6, s0
	s_wait_alu 0xfffd
	v_add_co_ci_u32_e32 v9, vcc_lo, s1, v7, vcc_lo
	global_store_b64 v[0:1], v[22:23], off
	v_add_co_u32 v0, vcc_lo, v8, s0
	s_wait_alu 0xfffd
	v_add_co_ci_u32_e32 v1, vcc_lo, s1, v9, vcc_lo
	global_store_b64 v[2:3], v[26:27], off
	global_store_b64 v[4:5], v[28:29], off
	global_store_b64 v[6:7], v[30:31], off
	;; [unrolled: 1-line block ×4, first 2 shown]
.LBB0_10:
	s_nop 0
	s_sendmsg sendmsg(MSG_DEALLOC_VGPRS)
	s_endpgm
	.section	.rodata,"a",@progbits
	.p2align	6, 0x0
	.amdhsa_kernel bluestein_single_back_len44_dim1_sp_op_CI_CI
		.amdhsa_group_segment_fixed_size 5632
		.amdhsa_private_segment_fixed_size 0
		.amdhsa_kernarg_size 104
		.amdhsa_user_sgpr_count 2
		.amdhsa_user_sgpr_dispatch_ptr 0
		.amdhsa_user_sgpr_queue_ptr 0
		.amdhsa_user_sgpr_kernarg_segment_ptr 1
		.amdhsa_user_sgpr_dispatch_id 0
		.amdhsa_user_sgpr_private_segment_size 0
		.amdhsa_wavefront_size32 1
		.amdhsa_uses_dynamic_stack 0
		.amdhsa_enable_private_segment 0
		.amdhsa_system_sgpr_workgroup_id_x 1
		.amdhsa_system_sgpr_workgroup_id_y 0
		.amdhsa_system_sgpr_workgroup_id_z 0
		.amdhsa_system_sgpr_workgroup_info 0
		.amdhsa_system_vgpr_workitem_id 0
		.amdhsa_next_free_vgpr 168
		.amdhsa_next_free_sgpr 20
		.amdhsa_reserve_vcc 1
		.amdhsa_float_round_mode_32 0
		.amdhsa_float_round_mode_16_64 0
		.amdhsa_float_denorm_mode_32 3
		.amdhsa_float_denorm_mode_16_64 3
		.amdhsa_fp16_overflow 0
		.amdhsa_workgroup_processor_mode 1
		.amdhsa_memory_ordered 1
		.amdhsa_forward_progress 0
		.amdhsa_round_robin_scheduling 0
		.amdhsa_exception_fp_ieee_invalid_op 0
		.amdhsa_exception_fp_denorm_src 0
		.amdhsa_exception_fp_ieee_div_zero 0
		.amdhsa_exception_fp_ieee_overflow 0
		.amdhsa_exception_fp_ieee_underflow 0
		.amdhsa_exception_fp_ieee_inexact 0
		.amdhsa_exception_int_div_zero 0
	.end_amdhsa_kernel
	.text
.Lfunc_end0:
	.size	bluestein_single_back_len44_dim1_sp_op_CI_CI, .Lfunc_end0-bluestein_single_back_len44_dim1_sp_op_CI_CI
                                        ; -- End function
	.section	.AMDGPU.csdata,"",@progbits
; Kernel info:
; codeLenInByte = 8284
; NumSgprs: 22
; NumVgprs: 168
; ScratchSize: 0
; MemoryBound: 0
; FloatMode: 240
; IeeeMode: 1
; LDSByteSize: 5632 bytes/workgroup (compile time only)
; SGPRBlocks: 2
; VGPRBlocks: 20
; NumSGPRsForWavesPerEU: 22
; NumVGPRsForWavesPerEU: 168
; Occupancy: 9
; WaveLimiterHint : 1
; COMPUTE_PGM_RSRC2:SCRATCH_EN: 0
; COMPUTE_PGM_RSRC2:USER_SGPR: 2
; COMPUTE_PGM_RSRC2:TRAP_HANDLER: 0
; COMPUTE_PGM_RSRC2:TGID_X_EN: 1
; COMPUTE_PGM_RSRC2:TGID_Y_EN: 0
; COMPUTE_PGM_RSRC2:TGID_Z_EN: 0
; COMPUTE_PGM_RSRC2:TIDIG_COMP_CNT: 0
	.text
	.p2alignl 7, 3214868480
	.fill 96, 4, 3214868480
	.type	__hip_cuid_d53d9c66bafd9cc9,@object ; @__hip_cuid_d53d9c66bafd9cc9
	.section	.bss,"aw",@nobits
	.globl	__hip_cuid_d53d9c66bafd9cc9
__hip_cuid_d53d9c66bafd9cc9:
	.byte	0                               ; 0x0
	.size	__hip_cuid_d53d9c66bafd9cc9, 1

	.ident	"AMD clang version 19.0.0git (https://github.com/RadeonOpenCompute/llvm-project roc-6.4.0 25133 c7fe45cf4b819c5991fe208aaa96edf142730f1d)"
	.section	".note.GNU-stack","",@progbits
	.addrsig
	.addrsig_sym __hip_cuid_d53d9c66bafd9cc9
	.amdgpu_metadata
---
amdhsa.kernels:
  - .args:
      - .actual_access:  read_only
        .address_space:  global
        .offset:         0
        .size:           8
        .value_kind:     global_buffer
      - .actual_access:  read_only
        .address_space:  global
        .offset:         8
        .size:           8
        .value_kind:     global_buffer
      - .actual_access:  read_only
        .address_space:  global
        .offset:         16
        .size:           8
        .value_kind:     global_buffer
      - .actual_access:  read_only
        .address_space:  global
        .offset:         24
        .size:           8
        .value_kind:     global_buffer
      - .actual_access:  read_only
        .address_space:  global
        .offset:         32
        .size:           8
        .value_kind:     global_buffer
      - .offset:         40
        .size:           8
        .value_kind:     by_value
      - .address_space:  global
        .offset:         48
        .size:           8
        .value_kind:     global_buffer
      - .address_space:  global
        .offset:         56
        .size:           8
        .value_kind:     global_buffer
      - .address_space:  global
        .offset:         64
        .size:           8
        .value_kind:     global_buffer
      - .address_space:  global
        .offset:         72
        .size:           8
        .value_kind:     global_buffer
      - .offset:         80
        .size:           4
        .value_kind:     by_value
      - .address_space:  global
        .offset:         88
        .size:           8
        .value_kind:     global_buffer
      - .address_space:  global
        .offset:         96
        .size:           8
        .value_kind:     global_buffer
    .group_segment_fixed_size: 5632
    .kernarg_segment_align: 8
    .kernarg_segment_size: 104
    .language:       OpenCL C
    .language_version:
      - 2
      - 0
    .max_flat_workgroup_size: 64
    .name:           bluestein_single_back_len44_dim1_sp_op_CI_CI
    .private_segment_fixed_size: 0
    .sgpr_count:     22
    .sgpr_spill_count: 0
    .symbol:         bluestein_single_back_len44_dim1_sp_op_CI_CI.kd
    .uniform_work_group_size: 1
    .uses_dynamic_stack: false
    .vgpr_count:     168
    .vgpr_spill_count: 0
    .wavefront_size: 32
    .workgroup_processor_mode: 1
amdhsa.target:   amdgcn-amd-amdhsa--gfx1201
amdhsa.version:
  - 1
  - 2
...

	.end_amdgpu_metadata
